;; amdgpu-corpus repo=ROCm/rocFFT kind=compiled arch=gfx1030 opt=O3
	.text
	.amdgcn_target "amdgcn-amd-amdhsa--gfx1030"
	.amdhsa_code_object_version 6
	.protected	fft_rtc_back_len1404_factors_2_2_3_13_3_3_wgs_117_tpt_117_halfLds_sp_ip_CI_sbrr_dirReg ; -- Begin function fft_rtc_back_len1404_factors_2_2_3_13_3_3_wgs_117_tpt_117_halfLds_sp_ip_CI_sbrr_dirReg
	.globl	fft_rtc_back_len1404_factors_2_2_3_13_3_3_wgs_117_tpt_117_halfLds_sp_ip_CI_sbrr_dirReg
	.p2align	8
	.type	fft_rtc_back_len1404_factors_2_2_3_13_3_3_wgs_117_tpt_117_halfLds_sp_ip_CI_sbrr_dirReg,@function
fft_rtc_back_len1404_factors_2_2_3_13_3_3_wgs_117_tpt_117_halfLds_sp_ip_CI_sbrr_dirReg: ; @fft_rtc_back_len1404_factors_2_2_3_13_3_3_wgs_117_tpt_117_halfLds_sp_ip_CI_sbrr_dirReg
; %bb.0:
	s_clause 0x2
	s_load_dwordx2 s[14:15], s[4:5], 0x18
	s_load_dwordx4 s[8:11], s[4:5], 0x0
	s_load_dwordx2 s[12:13], s[4:5], 0x50
	v_mul_u32_u24_e32 v1, 0x231, v0
	v_mov_b32_e32 v3, 0
	v_add_nc_u32_sdwa v5, s6, v1 dst_sel:DWORD dst_unused:UNUSED_PAD src0_sel:DWORD src1_sel:WORD_1
	v_mov_b32_e32 v1, 0
	v_mov_b32_e32 v6, v3
	v_mov_b32_e32 v2, 0
	s_waitcnt lgkmcnt(0)
	s_load_dwordx2 s[2:3], s[14:15], 0x0
	v_cmp_lt_u64_e64 s0, s[10:11], 2
	s_and_b32 vcc_lo, exec_lo, s0
	s_cbranch_vccnz .LBB0_8
; %bb.1:
	s_load_dwordx2 s[0:1], s[4:5], 0x10
	v_mov_b32_e32 v1, 0
	s_add_u32 s6, s14, 8
	v_mov_b32_e32 v2, 0
	s_addc_u32 s7, s15, 0
	s_mov_b64 s[18:19], 1
	s_waitcnt lgkmcnt(0)
	s_add_u32 s16, s0, 8
	s_addc_u32 s17, s1, 0
.LBB0_2:                                ; =>This Inner Loop Header: Depth=1
	s_load_dwordx2 s[20:21], s[16:17], 0x0
                                        ; implicit-def: $vgpr7_vgpr8
	s_mov_b32 s0, exec_lo
	s_waitcnt lgkmcnt(0)
	v_or_b32_e32 v4, s21, v6
	v_cmpx_ne_u64_e32 0, v[3:4]
	s_xor_b32 s1, exec_lo, s0
	s_cbranch_execz .LBB0_4
; %bb.3:                                ;   in Loop: Header=BB0_2 Depth=1
	v_cvt_f32_u32_e32 v4, s20
	v_cvt_f32_u32_e32 v7, s21
	s_sub_u32 s0, 0, s20
	s_subb_u32 s22, 0, s21
	v_fmac_f32_e32 v4, 0x4f800000, v7
	v_rcp_f32_e32 v4, v4
	v_mul_f32_e32 v4, 0x5f7ffffc, v4
	v_mul_f32_e32 v7, 0x2f800000, v4
	v_trunc_f32_e32 v7, v7
	v_fmac_f32_e32 v4, 0xcf800000, v7
	v_cvt_u32_f32_e32 v7, v7
	v_cvt_u32_f32_e32 v4, v4
	v_mul_lo_u32 v8, s0, v7
	v_mul_hi_u32 v9, s0, v4
	v_mul_lo_u32 v10, s22, v4
	v_add_nc_u32_e32 v8, v9, v8
	v_mul_lo_u32 v9, s0, v4
	v_add_nc_u32_e32 v8, v8, v10
	v_mul_hi_u32 v10, v4, v9
	v_mul_lo_u32 v11, v4, v8
	v_mul_hi_u32 v12, v4, v8
	v_mul_hi_u32 v13, v7, v9
	v_mul_lo_u32 v9, v7, v9
	v_mul_hi_u32 v14, v7, v8
	v_mul_lo_u32 v8, v7, v8
	v_add_co_u32 v10, vcc_lo, v10, v11
	v_add_co_ci_u32_e32 v11, vcc_lo, 0, v12, vcc_lo
	v_add_co_u32 v9, vcc_lo, v10, v9
	v_add_co_ci_u32_e32 v9, vcc_lo, v11, v13, vcc_lo
	v_add_co_ci_u32_e32 v10, vcc_lo, 0, v14, vcc_lo
	v_add_co_u32 v8, vcc_lo, v9, v8
	v_add_co_ci_u32_e32 v9, vcc_lo, 0, v10, vcc_lo
	v_add_co_u32 v4, vcc_lo, v4, v8
	v_add_co_ci_u32_e32 v7, vcc_lo, v7, v9, vcc_lo
	v_mul_hi_u32 v8, s0, v4
	v_mul_lo_u32 v10, s22, v4
	v_mul_lo_u32 v9, s0, v7
	v_add_nc_u32_e32 v8, v8, v9
	v_mul_lo_u32 v9, s0, v4
	v_add_nc_u32_e32 v8, v8, v10
	v_mul_hi_u32 v10, v4, v9
	v_mul_lo_u32 v11, v4, v8
	v_mul_hi_u32 v12, v4, v8
	v_mul_hi_u32 v13, v7, v9
	v_mul_lo_u32 v9, v7, v9
	v_mul_hi_u32 v14, v7, v8
	v_mul_lo_u32 v8, v7, v8
	v_add_co_u32 v10, vcc_lo, v10, v11
	v_add_co_ci_u32_e32 v11, vcc_lo, 0, v12, vcc_lo
	v_add_co_u32 v9, vcc_lo, v10, v9
	v_add_co_ci_u32_e32 v9, vcc_lo, v11, v13, vcc_lo
	v_add_co_ci_u32_e32 v10, vcc_lo, 0, v14, vcc_lo
	v_add_co_u32 v8, vcc_lo, v9, v8
	v_add_co_ci_u32_e32 v9, vcc_lo, 0, v10, vcc_lo
	v_add_co_u32 v4, vcc_lo, v4, v8
	v_add_co_ci_u32_e32 v11, vcc_lo, v7, v9, vcc_lo
	v_mul_hi_u32 v13, v5, v4
	v_mad_u64_u32 v[9:10], null, v6, v4, 0
	v_mad_u64_u32 v[7:8], null, v5, v11, 0
	;; [unrolled: 1-line block ×3, first 2 shown]
	v_add_co_u32 v4, vcc_lo, v13, v7
	v_add_co_ci_u32_e32 v7, vcc_lo, 0, v8, vcc_lo
	v_add_co_u32 v4, vcc_lo, v4, v9
	v_add_co_ci_u32_e32 v4, vcc_lo, v7, v10, vcc_lo
	v_add_co_ci_u32_e32 v7, vcc_lo, 0, v12, vcc_lo
	v_add_co_u32 v4, vcc_lo, v4, v11
	v_add_co_ci_u32_e32 v9, vcc_lo, 0, v7, vcc_lo
	v_mul_lo_u32 v10, s21, v4
	v_mad_u64_u32 v[7:8], null, s20, v4, 0
	v_mul_lo_u32 v11, s20, v9
	v_sub_co_u32 v7, vcc_lo, v5, v7
	v_add3_u32 v8, v8, v11, v10
	v_sub_nc_u32_e32 v10, v6, v8
	v_subrev_co_ci_u32_e64 v10, s0, s21, v10, vcc_lo
	v_add_co_u32 v11, s0, v4, 2
	v_add_co_ci_u32_e64 v12, s0, 0, v9, s0
	v_sub_co_u32 v13, s0, v7, s20
	v_sub_co_ci_u32_e32 v8, vcc_lo, v6, v8, vcc_lo
	v_subrev_co_ci_u32_e64 v10, s0, 0, v10, s0
	v_cmp_le_u32_e32 vcc_lo, s20, v13
	v_cmp_eq_u32_e64 s0, s21, v8
	v_cndmask_b32_e64 v13, 0, -1, vcc_lo
	v_cmp_le_u32_e32 vcc_lo, s21, v10
	v_cndmask_b32_e64 v14, 0, -1, vcc_lo
	v_cmp_le_u32_e32 vcc_lo, s20, v7
	;; [unrolled: 2-line block ×3, first 2 shown]
	v_cndmask_b32_e64 v15, 0, -1, vcc_lo
	v_cmp_eq_u32_e32 vcc_lo, s21, v10
	v_cndmask_b32_e64 v7, v15, v7, s0
	v_cndmask_b32_e32 v10, v14, v13, vcc_lo
	v_add_co_u32 v13, vcc_lo, v4, 1
	v_add_co_ci_u32_e32 v14, vcc_lo, 0, v9, vcc_lo
	v_cmp_ne_u32_e32 vcc_lo, 0, v10
	v_cndmask_b32_e32 v8, v14, v12, vcc_lo
	v_cndmask_b32_e32 v10, v13, v11, vcc_lo
	v_cmp_ne_u32_e32 vcc_lo, 0, v7
	v_cndmask_b32_e32 v8, v9, v8, vcc_lo
	v_cndmask_b32_e32 v7, v4, v10, vcc_lo
.LBB0_4:                                ;   in Loop: Header=BB0_2 Depth=1
	s_andn2_saveexec_b32 s0, s1
	s_cbranch_execz .LBB0_6
; %bb.5:                                ;   in Loop: Header=BB0_2 Depth=1
	v_cvt_f32_u32_e32 v4, s20
	s_sub_i32 s1, 0, s20
	v_rcp_iflag_f32_e32 v4, v4
	v_mul_f32_e32 v4, 0x4f7ffffe, v4
	v_cvt_u32_f32_e32 v4, v4
	v_mul_lo_u32 v7, s1, v4
	v_mul_hi_u32 v7, v4, v7
	v_add_nc_u32_e32 v4, v4, v7
	v_mul_hi_u32 v4, v5, v4
	v_mul_lo_u32 v7, v4, s20
	v_add_nc_u32_e32 v8, 1, v4
	v_sub_nc_u32_e32 v7, v5, v7
	v_subrev_nc_u32_e32 v9, s20, v7
	v_cmp_le_u32_e32 vcc_lo, s20, v7
	v_cndmask_b32_e32 v7, v7, v9, vcc_lo
	v_cndmask_b32_e32 v4, v4, v8, vcc_lo
	v_cmp_le_u32_e32 vcc_lo, s20, v7
	v_add_nc_u32_e32 v8, 1, v4
	v_cndmask_b32_e32 v7, v4, v8, vcc_lo
	v_mov_b32_e32 v8, v3
.LBB0_6:                                ;   in Loop: Header=BB0_2 Depth=1
	s_or_b32 exec_lo, exec_lo, s0
	s_load_dwordx2 s[0:1], s[6:7], 0x0
	v_mul_lo_u32 v4, v8, s20
	v_mul_lo_u32 v11, v7, s21
	v_mad_u64_u32 v[9:10], null, v7, s20, 0
	s_add_u32 s18, s18, 1
	s_addc_u32 s19, s19, 0
	s_add_u32 s6, s6, 8
	s_addc_u32 s7, s7, 0
	;; [unrolled: 2-line block ×3, first 2 shown]
	v_add3_u32 v4, v10, v11, v4
	v_sub_co_u32 v5, vcc_lo, v5, v9
	v_sub_co_ci_u32_e32 v4, vcc_lo, v6, v4, vcc_lo
	s_waitcnt lgkmcnt(0)
	v_mul_lo_u32 v6, s1, v5
	v_mul_lo_u32 v4, s0, v4
	v_mad_u64_u32 v[1:2], null, s0, v5, v[1:2]
	v_cmp_ge_u64_e64 s0, s[18:19], s[10:11]
	s_and_b32 vcc_lo, exec_lo, s0
	v_add3_u32 v2, v6, v2, v4
	s_cbranch_vccnz .LBB0_9
; %bb.7:                                ;   in Loop: Header=BB0_2 Depth=1
	v_mov_b32_e32 v5, v7
	v_mov_b32_e32 v6, v8
	s_branch .LBB0_2
.LBB0_8:
	v_mov_b32_e32 v8, v6
	v_mov_b32_e32 v7, v5
.LBB0_9:
	s_lshl_b64 s[0:1], s[10:11], 3
	v_mul_hi_u32 v3, 0x2302303, v0
	s_add_u32 s0, s14, s0
	s_addc_u32 s1, s15, s1
	s_load_dwordx2 s[4:5], s[4:5], 0x20
	s_load_dwordx2 s[0:1], s[0:1], 0x0
                                        ; implicit-def: $vgpr43
                                        ; implicit-def: $vgpr42
                                        ; implicit-def: $vgpr41
                                        ; implicit-def: $vgpr27
                                        ; implicit-def: $vgpr26
	v_mul_u32_u24_e32 v3, 0x75, v3
	v_sub_nc_u32_e32 v34, v0, v3
	v_add_nc_u32_e32 v35, 0x75, v34
	v_add_nc_u32_e32 v32, 0xea, v34
	;; [unrolled: 1-line block ×5, first 2 shown]
	s_waitcnt lgkmcnt(0)
	v_cmp_gt_u64_e32 vcc_lo, s[4:5], v[7:8]
	v_mul_lo_u32 v3, s0, v8
	v_mul_lo_u32 v4, s1, v7
	v_mad_u64_u32 v[0:1], null, s0, v7, v[1:2]
	v_cmp_le_u64_e64 s0, s[4:5], v[7:8]
                                        ; implicit-def: $sgpr4_sgpr5
	v_add3_u32 v1, v4, v1, v3
	s_and_saveexec_b32 s1, s0
	s_xor_b32 s0, exec_lo, s1
; %bb.10:
	v_add_nc_u32_e32 v43, 0x75, v34
	v_add_nc_u32_e32 v42, 0xea, v34
	;; [unrolled: 1-line block ×5, first 2 shown]
	s_mov_b64 s[4:5], 0
; %bb.11:
	s_or_saveexec_b32 s1, s0
	v_mov_b32_e32 v2, s4
	v_lshlrev_b64 v[0:1], 3, v[0:1]
	v_mov_b32_e32 v4, s4
	v_mov_b32_e32 v15, s5
	;; [unrolled: 1-line block ×6, first 2 shown]
	v_add_nc_u32_e32 v39, 0x3a8, v34
	v_add_nc_u32_e32 v38, 0x41d, v34
	v_mov_b32_e32 v5, s5
	v_mov_b32_e32 v14, s4
	;; [unrolled: 1-line block ×5, first 2 shown]
                                        ; implicit-def: $vgpr9
                                        ; implicit-def: $vgpr7
                                        ; implicit-def: $vgpr23
                                        ; implicit-def: $vgpr19
                                        ; implicit-def: $vgpr21
                                        ; implicit-def: $vgpr25
	s_xor_b32 exec_lo, exec_lo, s1
	s_cbranch_execz .LBB0_13
; %bb.12:
	v_add_nc_u32_e32 v11, 0x2be, v34
	v_mad_u64_u32 v[2:3], null, s2, v34, 0
	v_add_nc_u32_e32 v14, 0x333, v34
	v_mad_u64_u32 v[6:7], null, s2, v35, 0
	v_mad_u64_u32 v[4:5], null, s2, v11, 0
	v_add_co_u32 v42, s0, s12, v0
	v_add_co_ci_u32_e64 v43, s0, s13, v1, s0
	v_mad_u64_u32 v[18:19], null, s2, v33, 0
	v_mad_u64_u32 v[8:9], null, s3, v34, v[3:4]
	;; [unrolled: 1-line block ×3, first 2 shown]
	v_mov_b32_e32 v3, v5
	v_mov_b32_e32 v5, v7
	v_add_nc_u32_e32 v26, 0x492, v34
	v_add_nc_u32_e32 v40, 0x507, v34
	v_mad_u64_u32 v[11:12], null, s3, v11, v[3:4]
	v_mov_b32_e32 v7, v10
	v_mad_u64_u32 v[12:13], null, s3, v35, v[5:6]
	v_mov_b32_e32 v3, v8
	v_mad_u64_u32 v[22:23], null, s2, v26, 0
	v_mad_u64_u32 v[13:14], null, s3, v14, v[7:8]
	v_mov_b32_e32 v5, v11
	v_mov_b32_e32 v7, v12
	v_mad_u64_u32 v[11:12], null, s2, v32, 0
	v_lshlrev_b64 v[2:3], 3, v[2:3]
	v_lshlrev_b64 v[4:5], 3, v[4:5]
	v_mov_b32_e32 v10, v13
	v_mad_u64_u32 v[13:14], null, s2, v39, 0
	v_lshlrev_b64 v[6:7], 3, v[6:7]
	v_add_co_u32 v2, s0, v42, v2
	v_lshlrev_b64 v[8:9], 3, v[9:10]
	v_mov_b32_e32 v10, v12
	v_add_co_ci_u32_e64 v3, s0, v43, v3, s0
	v_add_co_u32 v4, s0, v42, v4
	v_mad_u64_u32 v[15:16], null, s3, v32, v[10:11]
	v_mov_b32_e32 v10, v14
	v_add_co_ci_u32_e64 v5, s0, v43, v5, s0
	v_add_co_u32 v6, s0, v42, v6
	v_mad_u64_u32 v[20:21], null, s3, v39, v[10:11]
	v_add_co_ci_u32_e64 v7, s0, v43, v7, s0
	v_mov_b32_e32 v12, v15
	v_add_co_u32 v16, s0, v42, v8
	v_add_co_ci_u32_e64 v17, s0, v43, v9, s0
	s_clause 0x3
	global_load_dwordx2 v[2:3], v[2:3], off
	global_load_dwordx2 v[8:9], v[4:5], off
	;; [unrolled: 1-line block ×4, first 2 shown]
	v_lshlrev_b64 v[10:11], 3, v[11:12]
	v_mov_b32_e32 v12, v19
	v_mov_b32_e32 v14, v20
	v_mad_u64_u32 v[15:16], null, s2, v38, 0
	v_mad_u64_u32 v[19:20], null, s3, v33, v[12:13]
	v_lshlrev_b64 v[13:14], 3, v[13:14]
	v_mad_u64_u32 v[20:21], null, s2, v37, 0
	v_add_co_u32 v10, s0, v42, v10
	v_mov_b32_e32 v12, v16
	v_add_co_ci_u32_e64 v11, s0, v43, v11, s0
	v_add_co_u32 v24, s0, v42, v13
	v_mad_u64_u32 v[16:17], null, s3, v38, v[12:13]
	v_add_co_ci_u32_e64 v25, s0, v43, v14, s0
	v_lshlrev_b64 v[13:14], 3, v[18:19]
	v_mov_b32_e32 v12, v21
	v_lshlrev_b64 v[15:16], 3, v[15:16]
	v_mad_u64_u32 v[17:18], null, s3, v37, v[12:13]
	v_mad_u64_u32 v[18:19], null, s2, v36, 0
	v_mov_b32_e32 v12, v23
	v_mov_b32_e32 v21, v17
	v_mad_u64_u32 v[26:27], null, s3, v26, v[12:13]
	v_add_co_u32 v12, s0, v42, v13
	v_add_co_ci_u32_e64 v13, s0, v43, v14, s0
	v_mov_b32_e32 v14, v19
	v_mad_u64_u32 v[27:28], null, s2, v40, 0
	v_mov_b32_e32 v23, v26
	v_mad_u64_u32 v[29:30], null, s3, v36, v[14:15]
	v_add_co_u32 v30, s0, v42, v15
	v_add_co_ci_u32_e64 v31, s0, v43, v16, s0
	v_lshlrev_b64 v[15:16], 3, v[20:21]
	v_mov_b32_e32 v14, v28
	v_mov_b32_e32 v19, v29
	v_mad_u64_u32 v[20:21], null, s3, v40, v[14:15]
	v_lshlrev_b64 v[21:22], 3, v[22:23]
	v_add_co_u32 v40, s0, v42, v15
	v_lshlrev_b64 v[14:15], 3, v[18:19]
	v_add_co_ci_u32_e64 v41, s0, v43, v16, s0
	v_mov_b32_e32 v28, v20
	v_add_co_u32 v18, s0, v42, v21
	v_add_co_ci_u32_e64 v19, s0, v43, v22, s0
	v_lshlrev_b64 v[16:17], 3, v[27:28]
	v_add_co_u32 v26, s0, v42, v14
	v_add_co_ci_u32_e64 v27, s0, v43, v15, s0
	v_add_co_u32 v28, s0, v42, v16
	v_add_co_ci_u32_e64 v29, s0, v43, v17, s0
	s_clause 0x7
	global_load_dwordx2 v[14:15], v[10:11], off
	global_load_dwordx2 v[22:23], v[24:25], off
	;; [unrolled: 1-line block ×8, first 2 shown]
	v_mov_b32_e32 v26, v36
	v_mov_b32_e32 v27, v37
	;; [unrolled: 1-line block ×5, first 2 shown]
.LBB0_13:
	s_or_b32 exec_lo, exec_lo, s1
	s_waitcnt vmcnt(10)
	v_sub_f32_e32 v8, v2, v8
	s_waitcnt vmcnt(8)
	v_sub_f32_e32 v53, v5, v7
	v_sub_f32_e32 v29, v3, v9
	;; [unrolled: 1-line block ×3, first 2 shown]
	s_waitcnt vmcnt(2)
	v_sub_f32_e32 v49, v10, v20
	v_fma_f32 v7, v2, 2.0, -v8
	v_fma_f32 v52, v5, 2.0, -v53
	v_lshl_add_u32 v5, v34, 3, 0
	v_fma_f32 v28, v3, 2.0, -v29
	v_fma_f32 v30, v4, 2.0, -v31
	v_sub_f32_e32 v3, v14, v22
	v_sub_f32_e32 v47, v16, v24
	v_lshl_add_u32 v4, v43, 3, 0
	v_fma_f32 v48, v10, 2.0, -v49
	s_waitcnt vmcnt(0)
	v_sub_f32_e32 v10, v12, v18
	ds_write_b64 v5, v[7:8]
	ds_write_b64 v4, v[30:31]
	v_lshlrev_b32_e32 v7, 2, v34
	v_fma_f32 v2, v14, 2.0, -v3
	v_fma_f32 v46, v16, 2.0, -v47
	v_lshl_add_u32 v6, v42, 3, 0
	v_lshl_add_u32 v44, v41, 3, 0
	;; [unrolled: 1-line block ×3, first 2 shown]
	v_fma_f32 v9, v12, 2.0, -v10
	v_lshl_add_u32 v20, v26, 3, 0
	v_sub_f32_e32 v23, v15, v23
	v_sub_f32_e32 v25, v17, v25
	v_sub_nc_u32_e32 v40, v5, v7
	ds_write_b64 v6, v[2:3]
	ds_write_b64 v44, v[46:47]
	;; [unrolled: 1-line block ×4, first 2 shown]
	v_lshlrev_b32_e32 v46, 2, v43
	v_lshlrev_b32_e32 v48, 2, v42
	;; [unrolled: 1-line block ×3, first 2 shown]
	v_fma_f32 v22, v15, 2.0, -v23
	v_sub_f32_e32 v15, v11, v21
	v_lshlrev_b32_e32 v51, 2, v27
	v_fma_f32 v24, v17, 2.0, -v25
	v_sub_f32_e32 v17, v13, v19
	v_add_nc_u32_e32 v47, 0xa00, v40
	v_add_nc_u32_e32 v49, 0xe00, v40
	;; [unrolled: 1-line block ×3, first 2 shown]
	v_lshlrev_b32_e32 v2, 2, v26
	v_sub_nc_u32_e32 v8, v4, v46
	v_sub_nc_u32_e32 v9, v6, v48
	;; [unrolled: 1-line block ×3, first 2 shown]
	v_fma_f32 v14, v11, 2.0, -v15
	v_sub_nc_u32_e32 v11, v45, v51
	v_fma_f32 v16, v13, 2.0, -v17
	s_waitcnt lgkmcnt(0)
	s_barrier
	buffer_gl0_inv
	ds_read2_b32 v[12:13], v47 offset0:62 offset1:179
	ds_read2_b32 v[18:19], v49 offset0:40 offset1:157
	;; [unrolled: 1-line block ×3, first 2 shown]
	v_sub_nc_u32_e32 v56, v20, v2
	ds_read_b32 v57, v40
	ds_read_b32 v58, v8
	;; [unrolled: 1-line block ×6, first 2 shown]
	s_waitcnt lgkmcnt(0)
	s_barrier
	buffer_gl0_inv
	ds_write_b64 v5, v[28:29]
	ds_write_b64 v4, v[52:53]
	;; [unrolled: 1-line block ×3, first 2 shown]
	v_and_b32_e32 v23, 1, v34
	v_and_b32_e32 v52, 1, v43
	ds_write_b64 v44, v[24:25]
	ds_write_b64 v45, v[14:15]
	;; [unrolled: 1-line block ×3, first 2 shown]
	v_and_b32_e32 v20, 1, v41
	v_and_b32_e32 v24, 1, v26
	v_lshlrev_b32_e32 v2, 3, v23
	v_lshlrev_b32_e32 v3, 3, v52
	s_waitcnt lgkmcnt(0)
	v_lshlrev_b32_e32 v5, 3, v20
	s_barrier
	buffer_gl0_inv
	s_clause 0x1
	global_load_dwordx2 v[14:15], v2, s[8:9]
	global_load_dwordx2 v[16:17], v3, s[8:9]
	v_lshlrev_b32_e32 v2, 3, v24
	s_clause 0x1
	global_load_dwordx2 v[21:22], v5, s[8:9]
	global_load_dwordx2 v[28:29], v2, s[8:9]
	v_lshlrev_b32_e32 v2, 1, v43
	v_lshlrev_b32_e32 v25, 1, v27
	;; [unrolled: 1-line block ×5, first 2 shown]
	v_and_or_b32 v52, 0x1fc, v2, v52
	v_and_or_b32 v55, 0x7fc, v25, v23
	;; [unrolled: 1-line block ×3, first 2 shown]
	ds_read2_b32 v[25:26], v47 offset0:62 offset1:179
	v_lshlrev_b32_e32 v5, 1, v42
	v_lshl_add_u32 v47, v52, 2, 0
	ds_read2_b32 v[52:53], v49 offset0:40 offset1:157
	v_lshl_add_u32 v49, v55, 2, 0
	ds_read2_b32 v[54:55], v54 offset0:18 offset1:135
	ds_read_b32 v69, v40
	ds_read_b32 v70, v8
	;; [unrolled: 1-line block ×6, first 2 shown]
	v_and_or_b32 v27, 0xfc, v3, v23
	v_and_or_b32 v20, 0x3fc, v7, v20
	;; [unrolled: 1-line block ×3, first 2 shown]
	v_lshl_add_u32 v68, v24, 2, 0
	v_add_nc_u32_e32 v24, 0x800, v40
	v_lshl_add_u32 v27, v27, 2, 0
	v_lshl_add_u32 v67, v20, 2, 0
	v_add_nc_u32_e32 v20, 0xc00, v40
	v_lshl_add_u32 v66, v23, 2, 0
	v_and_b32_e32 v63, 3, v43
	v_and_b32_e32 v80, 3, v42
	;; [unrolled: 1-line block ×3, first 2 shown]
	v_add_nc_u32_e32 v23, 0x1000, v40
	s_waitcnt vmcnt(0) lgkmcnt(0)
	s_barrier
	buffer_gl0_inv
	v_lshlrev_b32_e32 v64, 4, v63
	v_lshlrev_b32_e32 v65, 4, v80
	v_cmp_gt_u32_e64 s0, 0x6c, v34
	v_mul_f32_e32 v74, v25, v15
	v_mul_f32_e32 v75, v26, v17
	;; [unrolled: 1-line block ×12, first 2 shown]
	v_fmac_f32_e32 v74, v12, v14
	v_fmac_f32_e32 v75, v13, v16
	v_fma_f32 v13, v25, v14, -v77
	v_fma_f32 v12, v26, v16, -v17
	v_fmac_f32_e32 v78, v18, v14
	v_fma_f32 v17, v52, v14, -v81
	v_fmac_f32_e32 v79, v19, v21
	;; [unrolled: 2-line block ×4, first 2 shown]
	v_fma_f32 v15, v55, v28, -v29
	v_sub_f32_e32 v18, v57, v74
	v_sub_f32_e32 v21, v69, v13
	;; [unrolled: 1-line block ×12, first 2 shown]
	v_fma_f32 v14, v57, 2.0, -v18
	v_fma_f32 v31, v69, 2.0, -v21
	;; [unrolled: 1-line block ×12, first 2 shown]
	ds_write2_b32 v27, v14, v18 offset1:2
	ds_write2_b32 v47, v16, v13 offset1:2
	;; [unrolled: 1-line block ×6, first 2 shown]
	s_waitcnt lgkmcnt(0)
	s_barrier
	buffer_gl0_inv
	ds_read_b32 v16, v40
	ds_read2_b32 v[17:18], v20 offset0:51 offset1:168
	ds_read2_b32 v[72:73], v24 offset0:73 offset1:190
	ds_read_b32 v60, v11
	ds_read_b32 v13, v10
	;; [unrolled: 1-line block ×4, first 2 shown]
	ds_read_b32 v81, v40 offset:5148
	ds_read2_b32 v[74:75], v23 offset0:29 offset1:146
	s_waitcnt lgkmcnt(0)
	s_barrier
	buffer_gl0_inv
	ds_write2_b32 v27, v31, v21 offset1:2
	ds_write2_b32 v47, v55, v12 offset1:2
	;; [unrolled: 1-line block ×6, first 2 shown]
	v_and_b32_e32 v12, 3, v41
	v_lshlrev_b32_e32 v15, 4, v76
	s_waitcnt lgkmcnt(0)
	s_barrier
	buffer_gl0_inv
	v_lshlrev_b32_e32 v21, 4, v12
	s_clause 0x3
	global_load_dwordx4 v[27:30], v64, s[8:9] offset:16
	global_load_dwordx4 v[56:59], v65, s[8:9] offset:16
	;; [unrolled: 1-line block ×4, first 2 shown]
	v_lshrrev_b32_e32 v15, 2, v43
	v_lshrrev_b32_e32 v22, 2, v42
	;; [unrolled: 1-line block ×4, first 2 shown]
	ds_read2_b32 v[78:79], v23 offset0:29 offset1:146
	v_mul_lo_u32 v15, v15, 12
	v_mul_lo_u32 v22, v22, 12
	;; [unrolled: 1-line block ×3, first 2 shown]
	v_mul_u32_u24_e32 v21, 12, v21
	v_or_b32_e32 v15, v15, v63
	v_or_b32_e32 v21, v21, v76
	v_or_b32_e32 v22, v22, v80
	v_or_b32_e32 v25, v25, v12
	ds_read2_b32 v[76:77], v24 offset0:73 offset1:190
	v_lshl_add_u32 v47, v15, 2, 0
	ds_read_b32 v15, v11
	ds_read2_b32 v[11:12], v20 offset0:51 offset1:168
	v_lshl_add_u32 v53, v21, 2, 0
	v_lshl_add_u32 v49, v22, 2, 0
	v_lshl_add_u32 v52, v25, 2, 0
	ds_read_b32 v80, v40 offset:5148
	ds_read_b32 v21, v10
	ds_read_b32 v22, v9
	;; [unrolled: 1-line block ×4, first 2 shown]
	s_waitcnt vmcnt(0) lgkmcnt(0)
	s_barrier
	buffer_gl0_inv
	v_mul_f32_e32 v8, v76, v28
	v_mul_f32_e32 v10, v72, v28
	;; [unrolled: 1-line block ×16, first 2 shown]
	v_fmac_f32_e32 v8, v72, v27
	v_fmac_f32_e32 v9, v74, v29
	;; [unrolled: 1-line block ×8, first 2 shown]
	v_fma_f32 v62, v76, v27, -v10
	v_fma_f32 v27, v78, v29, -v28
	;; [unrolled: 1-line block ×8, first 2 shown]
	v_add_f32_e32 v10, v61, v63
	v_add_f32_e32 v15, v8, v9
	;; [unrolled: 1-line block ×8, first 2 shown]
	v_sub_f32_e32 v66, v65, v64
	v_sub_f32_e32 v67, v62, v27
	;; [unrolled: 1-line block ×4, first 2 shown]
	v_fmac_f32_e32 v16, -0.5, v10
	v_fmac_f32_e32 v19, -0.5, v15
	;; [unrolled: 1-line block ×4, first 2 shown]
	v_add_f32_e32 v17, v11, v9
	v_add_f32_e32 v15, v29, v55
	;; [unrolled: 1-line block ×4, first 2 shown]
	v_fmamk_f32 v11, v66, 0xbf5db3d7, v16
	v_fmac_f32_e32 v16, 0x3f5db3d7, v66
	v_fmamk_f32 v18, v67, 0xbf5db3d7, v19
	v_fmac_f32_e32 v19, 0x3f5db3d7, v67
	;; [unrolled: 2-line block ×4, first 2 shown]
	ds_write2_b32 v53, v10, v11 offset1:4
	ds_write_b32 v53, v16 offset:32
	ds_write2_b32 v47, v17, v18 offset1:4
	ds_write_b32 v47, v19 offset:32
	;; [unrolled: 2-line block ×4, first 2 shown]
	s_waitcnt lgkmcnt(0)
	s_barrier
	buffer_gl0_inv
                                        ; implicit-def: $vgpr60
	s_and_saveexec_b32 s1, s0
	s_cbranch_execz .LBB0_15
; %bb.14:
	v_add_nc_u32_e32 v12, 0x200, v40
	v_add_nc_u32_e32 v13, 0x600, v40
	ds_read2_b32 v[10:11], v40 offset1:108
	ds_read2_b32 v[28:29], v24 offset0:136 offset1:244
	ds_read2_b32 v[16:17], v12 offset0:88 offset1:196
	;; [unrolled: 1-line block ×5, first 2 shown]
	ds_read_b32 v60, v40 offset:5184
.LBB0_15:
	s_or_b32 exec_lo, exec_lo, s1
	v_add_f32_e32 v20, v65, v64
	v_add_f32_e32 v23, v26, v65
	v_sub_f32_e32 v24, v61, v63
	v_add_f32_e32 v61, v62, v27
	v_sub_f32_e32 v54, v54, v55
	v_fmac_f32_e32 v26, -0.5, v20
	v_add_f32_e32 v20, v25, v62
	v_sub_f32_e32 v62, v8, v9
	v_add_f32_e32 v8, v23, v64
	v_add_f32_e32 v23, v59, v58
	v_fmac_f32_e32 v25, -0.5, v61
	v_add_f32_e32 v27, v20, v27
	v_add_f32_e32 v20, v57, v56
	v_add_f32_e32 v57, v22, v57
	v_add_f32_e32 v59, v21, v59
	v_fmac_f32_e32 v21, -0.5, v23
	v_fmamk_f32 v9, v24, 0x3f5db3d7, v26
	v_fmac_f32_e32 v22, -0.5, v20
	v_sub_f32_e32 v20, v30, v31
	v_fmac_f32_e32 v26, 0xbf5db3d7, v24
	v_fmamk_f32 v24, v62, 0x3f5db3d7, v25
	v_fmac_f32_e32 v25, 0xbf5db3d7, v62
	v_add_f32_e32 v30, v57, v56
	v_fmamk_f32 v31, v20, 0x3f5db3d7, v22
	v_fmac_f32_e32 v22, 0xbf5db3d7, v20
	v_add_f32_e32 v23, v59, v58
	v_fmamk_f32 v20, v54, 0x3f5db3d7, v21
	v_fmac_f32_e32 v21, 0xbf5db3d7, v54
	s_waitcnt lgkmcnt(0)
	s_barrier
	buffer_gl0_inv
	ds_write2_b32 v53, v8, v9 offset1:4
	ds_write_b32 v53, v26 offset:32
	ds_write2_b32 v47, v27, v24 offset1:4
	ds_write_b32 v47, v25 offset:32
	;; [unrolled: 2-line block ×4, first 2 shown]
	s_waitcnt lgkmcnt(0)
	s_barrier
	buffer_gl0_inv
                                        ; implicit-def: $vgpr71
	s_and_saveexec_b32 s1, s0
	s_cbranch_execz .LBB0_17
; %bb.16:
	v_add_nc_u32_e32 v20, 0x200, v40
	v_add_nc_u32_e32 v21, 0x600, v40
	;; [unrolled: 1-line block ×5, first 2 shown]
	ds_read2_b32 v[8:9], v40 offset1:108
	ds_read2_b32 v[26:27], v20 offset0:88 offset1:196
	ds_read2_b32 v[24:25], v21 offset0:48 offset1:156
	;; [unrolled: 1-line block ×5, first 2 shown]
	ds_read_b32 v71, v40 offset:5184
.LBB0_17:
	s_or_b32 exec_lo, exec_lo, s1
	v_and_b32_e32 v47, 0xff, v34
	v_mov_b32_e32 v52, 12
	v_sub_nc_u32_e32 v67, 0, v46
	v_sub_nc_u32_e32 v66, 0, v48
	;; [unrolled: 1-line block ×3, first 2 shown]
	v_mul_lo_u16 v47, 0xab, v47
	v_sub_nc_u32_e32 v68, 0, v51
	v_lshrrev_b16 v47, 11, v47
	v_mul_lo_u16 v49, v47, 12
	v_sub_nc_u16 v49, v34, v49
	v_mul_u32_u24_sdwa v52, v49, v52 dst_sel:DWORD dst_unused:UNUSED_PAD src0_sel:BYTE_0 src1_sel:DWORD
	v_lshlrev_b32_e32 v52, 3, v52
	s_clause 0x5
	global_load_dwordx4 v[55:58], v52, s[8:9] offset:80
	global_load_dwordx4 v[72:75], v52, s[8:9] offset:96
	;; [unrolled: 1-line block ×6, first 2 shown]
	s_waitcnt vmcnt(0) lgkmcnt(0)
	s_barrier
	buffer_gl0_inv
	v_mul_f32_e32 v62, v9, v56
	v_mul_f32_e32 v61, v11, v56
	;; [unrolled: 1-line block ×24, first 2 shown]
	v_fmac_f32_e32 v62, v11, v55
	v_fma_f32 v70, v9, v55, -v61
	v_fmac_f32_e32 v59, v16, v57
	v_fma_f32 v64, v26, v57, -v58
	;; [unrolled: 2-line block ×12, first 2 shown]
	s_and_saveexec_b32 s1, s0
	s_cbranch_execz .LBB0_19
; %bb.18:
	v_sub_f32_e32 v9, v70, v60
	v_add_f32_e32 v11, v62, v69
	v_sub_f32_e32 v13, v64, v61
	v_add_f32_e32 v12, v59, v63
	v_sub_f32_e32 v18, v57, v58
	v_mul_f32_e32 v17, 0xbe750f2a, v9
	v_add_f32_e32 v14, v54, v56
	v_mul_f32_e32 v21, 0x3eedf032, v13
	v_sub_f32_e32 v20, v55, v15
	v_mul_f32_e32 v26, 0xbf29c268, v18
	v_fma_f32 v22, 0xbf788fa5, v11, -v17
	v_add_f32_e32 v19, v52, v53
	v_fma_f32 v29, 0x3f62ad3f, v12, -v21
	v_sub_f32_e32 v25, v27, v28
	v_mul_f32_e32 v71, 0x3f52af12, v20
	v_add_f32_e32 v22, v10, v22
	v_fma_f32 v72, 0xbf3f9e67, v14, -v26
	v_fmac_f32_e32 v17, 0xbf788fa5, v11
	v_add_f32_e32 v23, v50, v51
	v_fma_f32 v73, 0x3f116cb1, v19, -v71
	v_add_f32_e32 v22, v29, v22
	v_mul_f32_e32 v29, 0xbf6f5d39, v25
	v_fmac_f32_e32 v21, 0x3f62ad3f, v12
	v_add_f32_e32 v17, v10, v17
	v_fmac_f32_e32 v26, 0xbf3f9e67, v14
	v_add_f32_e32 v22, v72, v22
	v_mul_f32_e32 v72, 0xbf29c268, v9
	v_fma_f32 v74, 0xbeb58ec6, v23, -v29
	v_add_f32_e32 v17, v21, v17
	v_mul_f32_e32 v75, 0x3f7e222b, v13
	v_add_f32_e32 v22, v73, v22
	v_fma_f32 v73, 0xbf3f9e67, v11, -v72
	v_sub_f32_e32 v31, v16, v24
	v_add_f32_e32 v17, v26, v17
	v_fmac_f32_e32 v71, 0x3f116cb1, v19
	v_add_f32_e32 v22, v74, v22
	v_add_f32_e32 v26, v10, v73
	v_fma_f32 v73, 0x3df6dbef, v12, -v75
	v_mul_f32_e32 v74, 0xbf52af12, v18
	v_add_f32_e32 v30, v46, v48
	v_mul_f32_e32 v21, 0x3f7e222b, v31
	v_add_f32_e32 v17, v71, v17
	v_fmac_f32_e32 v29, 0xbeb58ec6, v23
	v_add_f32_e32 v26, v73, v26
	v_fma_f32 v71, 0x3f116cb1, v14, -v74
	v_mul_f32_e32 v73, 0x3e750f2a, v20
	v_fma_f32 v76, 0x3df6dbef, v30, -v21
	v_add_f32_e32 v17, v29, v17
	v_fmac_f32_e32 v72, 0xbf3f9e67, v11
	v_add_f32_e32 v26, v71, v26
	v_fma_f32 v29, 0xbf788fa5, v19, -v73
	v_mul_f32_e32 v71, 0x3eedf032, v25
	v_fmac_f32_e32 v21, 0x3df6dbef, v30
	v_add_f32_e32 v72, v10, v72
	v_fmac_f32_e32 v75, 0x3df6dbef, v12
	v_add_f32_e32 v26, v29, v26
	v_fma_f32 v29, 0x3f62ad3f, v23, -v71
	v_add_f32_e32 v17, v21, v17
	v_mul_f32_e32 v21, 0xbf6f5d39, v9
	v_add_f32_e32 v22, v76, v22
	v_add_f32_e32 v72, v75, v72
	v_fmac_f32_e32 v74, 0x3f116cb1, v14
	v_add_f32_e32 v26, v29, v26
	v_mul_f32_e32 v29, 0xbf6f5d39, v31
	v_fma_f32 v75, 0xbeb58ec6, v11, -v21
	v_mul_f32_e32 v76, 0x3f29c268, v13
	v_add_f32_e32 v72, v74, v72
	v_fmac_f32_e32 v73, 0xbf788fa5, v19
	v_fma_f32 v74, 0xbeb58ec6, v30, -v29
	v_add_f32_e32 v75, v10, v75
	v_fma_f32 v77, 0xbf3f9e67, v12, -v76
	v_mul_f32_e32 v78, 0x3eedf032, v18
	v_add_f32_e32 v72, v73, v72
	v_fmac_f32_e32 v71, 0x3f62ad3f, v23
	v_add_f32_e32 v26, v74, v26
	v_add_f32_e32 v73, v77, v75
	v_fma_f32 v74, 0x3f62ad3f, v14, -v78
	v_mul_f32_e32 v75, 0xbf7e222b, v20
	v_add_f32_e32 v71, v71, v72
	v_fmac_f32_e32 v29, 0xbeb58ec6, v30
	v_fmac_f32_e32 v21, 0xbeb58ec6, v11
	v_add_f32_e32 v72, v74, v73
	v_fma_f32 v73, 0x3df6dbef, v19, -v75
	v_mul_f32_e32 v74, 0x3e750f2a, v25
	v_add_f32_e32 v29, v29, v71
	v_add_f32_e32 v21, v10, v21
	v_fmac_f32_e32 v76, 0xbf3f9e67, v12
	v_add_f32_e32 v71, v73, v72
	v_fma_f32 v72, 0xbf788fa5, v23, -v74
	v_mul_f32_e32 v73, 0x3f52af12, v31
	v_mul_f32_e32 v77, 0xbf7e222b, v9
	v_add_f32_e32 v21, v76, v21
	v_fmac_f32_e32 v78, 0x3f62ad3f, v14
	v_add_f32_e32 v71, v72, v71
	v_fma_f32 v72, 0x3f116cb1, v30, -v73
	v_fma_f32 v76, 0x3df6dbef, v11, -v77
	v_mul_f32_e32 v79, 0xbe750f2a, v13
	v_add_f32_e32 v21, v78, v21
	v_fmac_f32_e32 v75, 0x3df6dbef, v19
	v_add_f32_e32 v71, v72, v71
	v_add_f32_e32 v72, v10, v76
	v_fma_f32 v76, 0xbf788fa5, v12, -v79
	v_mul_f32_e32 v78, 0x3f6f5d39, v18
	v_add_f32_e32 v21, v75, v21
	v_fmac_f32_e32 v74, 0xbf788fa5, v23
	v_fmac_f32_e32 v77, 0x3df6dbef, v11
	v_add_f32_e32 v72, v76, v72
	v_fma_f32 v75, 0xbeb58ec6, v14, -v78
	v_mul_f32_e32 v76, 0x3eedf032, v20
	v_add_f32_e32 v21, v74, v21
	v_add_f32_e32 v74, v10, v77
	v_fmac_f32_e32 v79, 0xbf788fa5, v12
	v_add_f32_e32 v72, v75, v72
	v_fma_f32 v75, 0x3f62ad3f, v19, -v76
	v_mul_f32_e32 v77, 0xbf52af12, v25
	v_fmac_f32_e32 v73, 0x3f116cb1, v30
	v_add_f32_e32 v74, v79, v74
	v_fmac_f32_e32 v78, 0xbeb58ec6, v14
	v_add_f32_e32 v72, v75, v72
	v_fma_f32 v75, 0x3f116cb1, v23, -v77
	v_mul_f32_e32 v79, 0xbf52af12, v9
	v_add_f32_e32 v21, v73, v21
	v_add_f32_e32 v73, v78, v74
	v_fmac_f32_e32 v76, 0x3f62ad3f, v19
	v_add_f32_e32 v72, v75, v72
	v_fma_f32 v74, 0x3f116cb1, v11, -v79
	v_mul_f32_e32 v75, 0xbf6f5d39, v13
	v_fmac_f32_e32 v79, 0x3f116cb1, v11
	v_mul_f32_e32 v78, 0xbf29c268, v31
	v_add_f32_e32 v73, v76, v73
	v_fmac_f32_e32 v77, 0x3f116cb1, v23
	v_fma_f32 v76, 0xbeb58ec6, v12, -v75
	v_add_f32_e32 v79, v10, v79
	v_fmac_f32_e32 v75, 0xbeb58ec6, v12
	v_fma_f32 v81, 0xbf3f9e67, v30, -v78
	v_add_f32_e32 v73, v77, v73
	v_fmac_f32_e32 v78, 0xbf3f9e67, v30
	v_mul_f32_e32 v9, 0xbeedf032, v9
	v_add_f32_e32 v75, v75, v79
	v_add_f32_e32 v79, v10, v62
	;; [unrolled: 1-line block ×4, first 2 shown]
	v_mul_f32_e32 v13, 0xbf52af12, v13
	v_mul_f32_e32 v80, 0xbe750f2a, v18
	v_add_f32_e32 v78, v79, v59
	v_fma_f32 v79, 0x3f62ad3f, v11, -v9
	v_fmac_f32_e32 v9, 0x3f62ad3f, v11
	v_mul_f32_e32 v18, 0xbf7e222b, v18
	v_add_f32_e32 v74, v76, v74
	v_add_f32_e32 v78, v78, v54
	;; [unrolled: 1-line block ×4, first 2 shown]
	v_fma_f32 v79, 0x3f116cb1, v12, -v13
	v_fmac_f32_e32 v13, 0x3f116cb1, v12
	v_add_f32_e32 v78, v78, v52
	v_fma_f32 v76, 0xbf788fa5, v14, -v80
	v_mul_f32_e32 v77, 0x3f29c268, v20
	v_add_f32_e32 v11, v79, v11
	v_fma_f32 v12, 0x3df6dbef, v14, -v18
	v_add_f32_e32 v78, v78, v50
	v_mul_f32_e32 v20, 0xbf6f5d39, v20
	v_add_f32_e32 v9, v13, v9
	v_fmac_f32_e32 v18, 0x3df6dbef, v14
	v_add_f32_e32 v74, v76, v74
	v_add_f32_e32 v10, v78, v46
	v_fma_f32 v76, 0xbf3f9e67, v19, -v77
	v_mul_f32_e32 v82, 0x3f7e222b, v25
	v_fmac_f32_e32 v80, 0xbf788fa5, v14
	v_add_f32_e32 v11, v12, v11
	v_add_f32_e32 v10, v10, v48
	v_fma_f32 v12, 0xbeb58ec6, v19, -v20
	v_mul_f32_e32 v13, 0xbf29c268, v25
	v_add_f32_e32 v9, v18, v9
	v_fmac_f32_e32 v20, 0xbeb58ec6, v19
	v_add_f32_e32 v10, v10, v51
	v_add_f32_e32 v74, v76, v74
	v_fma_f32 v76, 0x3df6dbef, v23, -v82
	v_add_f32_e32 v75, v80, v75
	v_fmac_f32_e32 v77, 0xbf3f9e67, v19
	v_add_f32_e32 v10, v10, v53
	v_add_f32_e32 v11, v12, v11
	v_mul_f32_e32 v12, 0xbe750f2a, v31
	v_fma_f32 v14, 0xbf3f9e67, v23, -v13
	v_add_f32_e32 v9, v20, v9
	v_fmac_f32_e32 v13, 0xbf3f9e67, v23
	v_add_f32_e32 v10, v10, v56
	v_mov_b32_e32 v19, 0x270
	v_mov_b32_e32 v20, 2
	v_add_f32_e32 v74, v76, v74
	v_mul_f32_e32 v76, 0x3eedf032, v31
	v_add_f32_e32 v75, v77, v75
	v_fmac_f32_e32 v82, 0x3df6dbef, v23
	v_fma_f32 v18, 0xbf788fa5, v30, -v12
	v_add_f32_e32 v9, v13, v9
	v_fmac_f32_e32 v12, 0xbf788fa5, v30
	v_add_f32_e32 v10, v10, v63
	v_mul_u32_u24_sdwa v13, v47, v19 dst_sel:DWORD dst_unused:UNUSED_PAD src0_sel:WORD_0 src1_sel:DWORD
	v_lshlrev_b32_sdwa v19, v20, v49 dst_sel:DWORD dst_unused:UNUSED_PAD src0_sel:DWORD src1_sel:BYTE_0
	v_fma_f32 v77, 0x3f62ad3f, v30, -v76
	v_add_f32_e32 v75, v82, v75
	v_fmac_f32_e32 v76, 0x3f62ad3f, v30
	v_add_f32_e32 v11, v14, v11
	v_add_f32_e32 v9, v12, v9
	;; [unrolled: 1-line block ×3, first 2 shown]
	v_add3_u32 v12, 0, v13, v19
	v_add_f32_e32 v13, v76, v75
	v_add_f32_e32 v14, v81, v72
	;; [unrolled: 1-line block ×4, first 2 shown]
	ds_write2_b32 v12, v10, v9 offset1:12
	ds_write2_b32 v12, v13, v73 offset0:24 offset1:36
	ds_write2_b32 v12, v21, v29 offset0:48 offset1:60
	;; [unrolled: 1-line block ×5, first 2 shown]
	ds_write_b32 v12, v11 offset:576
.LBB0_19:
	s_or_b32 exec_lo, exec_lo, s1
	v_add_nc_u32_e32 v21, 0xc00, v40
	v_add_nc_u32_e32 v22, 0x800, v40
	;; [unrolled: 1-line block ×6, first 2 shown]
	s_waitcnt lgkmcnt(0)
	s_barrier
	buffer_gl0_inv
	ds_read_b32 v29, v40
	v_add_nc_u32_e32 v17, v45, v68
	ds_read2_b32 v[9:10], v21 offset0:51 offset1:168
	ds_read2_b32 v[13:14], v22 offset0:73 offset1:190
	ds_read2_b32 v[11:12], v23 offset0:29 offset1:146
	ds_read_b32 v26, v18
	ds_read_b32 v25, v19
	;; [unrolled: 1-line block ×4, first 2 shown]
	ds_read_b32 v30, v40 offset:5148
	s_waitcnt lgkmcnt(0)
	s_barrier
	buffer_gl0_inv
	s_and_saveexec_b32 s1, s0
	s_cbranch_execz .LBB0_21
; %bb.20:
	v_add_f32_e32 v4, v8, v70
	v_add_f32_e32 v44, v70, v60
	v_sub_f32_e32 v45, v62, v69
	v_add_f32_e32 v62, v64, v61
	v_sub_f32_e32 v59, v59, v63
	v_add_f32_e32 v4, v4, v64
	v_mul_f32_e32 v64, 0x3f116cb1, v44
	v_mul_f32_e32 v63, 0x3f62ad3f, v44
	;; [unrolled: 1-line block ×4, first 2 shown]
	v_add_f32_e32 v4, v4, v57
	v_fmamk_f32 v73, v45, 0x3f52af12, v64
	v_fmac_f32_e32 v64, 0xbf52af12, v45
	v_mul_f32_e32 v66, 0xbeb58ec6, v44
	v_mul_f32_e32 v67, 0xbf3f9e67, v44
	v_add_f32_e32 v4, v4, v55
	v_mul_f32_e32 v44, 0xbf788fa5, v44
	v_mul_f32_e32 v68, 0x3f116cb1, v62
	v_fmamk_f32 v72, v45, 0x3eedf032, v63
	v_fmac_f32_e32 v63, 0xbeedf032, v45
	v_add_f32_e32 v4, v4, v27
	v_fmamk_f32 v78, v59, 0x3f6f5d39, v69
	v_fmac_f32_e32 v69, 0xbf6f5d39, v59
	v_add_f32_e32 v64, v8, v64
	v_mul_f32_e32 v70, 0xbf788fa5, v62
	v_add_f32_e32 v4, v4, v16
	v_fmamk_f32 v74, v45, 0x3f7e222b, v65
	v_fmac_f32_e32 v65, 0xbf7e222b, v45
	v_fmamk_f32 v75, v45, 0x3f6f5d39, v66
	v_fmac_f32_e32 v66, 0xbf6f5d39, v45
	v_add_f32_e32 v4, v4, v24
	v_fmamk_f32 v76, v45, 0x3f29c268, v67
	v_fmac_f32_e32 v67, 0xbf29c268, v45
	v_fmamk_f32 v77, v45, 0x3e750f2a, v44
	v_fmac_f32_e32 v44, 0xbe750f2a, v45
	v_add_f32_e32 v4, v4, v28
	v_fmamk_f32 v45, v59, 0x3f52af12, v68
	v_fmac_f32_e32 v68, 0xbf52af12, v59
	v_add_f32_e32 v72, v8, v72
	v_add_f32_e32 v63, v8, v63
	;; [unrolled: 1-line block ×4, first 2 shown]
	v_mul_f32_e32 v69, 0x3df6dbef, v62
	v_add_f32_e32 v57, v57, v58
	v_mul_f32_e32 v71, 0xbf3f9e67, v62
	v_add_f32_e32 v4, v4, v58
	v_add_f32_e32 v73, v8, v73
	;; [unrolled: 1-line block ×13, first 2 shown]
	v_fmamk_f32 v63, v59, 0x3e750f2a, v70
	v_fmac_f32_e32 v70, 0xbe750f2a, v59
	v_fmamk_f32 v58, v59, 0xbf7e222b, v69
	v_mul_f32_e32 v62, 0x3f62ad3f, v62
	v_fmac_f32_e32 v69, 0x3f7e222b, v59
	v_sub_f32_e32 v54, v54, v56
	v_mul_f32_e32 v56, 0x3df6dbef, v57
	v_fmamk_f32 v68, v59, 0xbf29c268, v71
	v_fmac_f32_e32 v71, 0x3f29c268, v59
	v_add_f32_e32 v65, v70, v65
	v_fmamk_f32 v70, v59, 0xbeedf032, v62
	v_fmac_f32_e32 v62, 0x3eedf032, v59
	v_add_f32_e32 v59, v69, v67
	v_fmamk_f32 v67, v54, 0x3f7e222b, v56
	v_mul_f32_e32 v69, 0xbf788fa5, v57
	v_add_f32_e32 v4, v4, v60
	v_add_f32_e32 v60, v78, v73
	;; [unrolled: 1-line block ×4, first 2 shown]
	v_fmamk_f32 v62, v54, 0x3e750f2a, v69
	v_mul_f32_e32 v67, 0xbeb58ec6, v57
	v_add_f32_e32 v63, v63, v74
	v_fmac_f32_e32 v56, 0xbf7e222b, v54
	v_add_f32_e32 v15, v55, v15
	v_add_f32_e32 v60, v62, v60
	v_fmamk_f32 v62, v54, 0xbf6f5d39, v67
	v_add_f32_e32 v58, v58, v76
	v_fmac_f32_e32 v69, 0xbe750f2a, v54
	v_add_f32_e32 v45, v56, v45
	v_mul_f32_e32 v56, 0x3f62ad3f, v57
	v_add_f32_e32 v62, v62, v63
	v_mul_f32_e32 v63, 0x3f116cb1, v57
	v_mul_f32_e32 v57, 0xbf3f9e67, v57
	v_sub_f32_e32 v52, v52, v53
	v_mul_f32_e32 v53, 0xbeb58ec6, v15
	v_add_f32_e32 v64, v69, v64
	v_fmamk_f32 v55, v54, 0x3f52af12, v63
	v_fmac_f32_e32 v63, 0xbf52af12, v54
	v_fmac_f32_e32 v67, 0x3f6f5d39, v54
	v_fmamk_f32 v69, v54, 0xbeedf032, v56
	v_fmac_f32_e32 v56, 0x3eedf032, v54
	v_add_f32_e32 v55, v55, v58
	v_fmamk_f32 v58, v54, 0x3f29c268, v57
	v_fmac_f32_e32 v57, 0xbf29c268, v54
	v_add_f32_e32 v54, v63, v59
	v_fmamk_f32 v59, v52, 0x3f6f5d39, v53
	v_mul_f32_e32 v63, 0xbf3f9e67, v15
	v_fmac_f32_e32 v53, 0xbf6f5d39, v52
	v_add_f32_e32 v8, v57, v8
	v_add_f32_e32 v66, v71, v66
	;; [unrolled: 1-line block ×3, first 2 shown]
	v_fmamk_f32 v57, v52, 0xbf29c268, v63
	v_mul_f32_e32 v59, 0x3f62ad3f, v15
	v_add_f32_e32 v61, v70, v61
	v_fmac_f32_e32 v63, 0x3f29c268, v52
	v_add_f32_e32 v45, v53, v45
	v_add_f32_e32 v57, v57, v60
	v_fmamk_f32 v60, v52, 0xbeedf032, v59
	v_mul_f32_e32 v53, 0x3df6dbef, v15
	v_add_f32_e32 v27, v27, v28
	v_add_f32_e32 v56, v56, v66
	v_add_f32_e32 v58, v58, v61
	v_add_f32_e32 v60, v60, v62
	v_mul_f32_e32 v62, 0xbf788fa5, v15
	v_add_f32_e32 v61, v63, v64
	v_fmamk_f32 v63, v52, 0x3f7e222b, v53
	v_fmac_f32_e32 v53, 0xbf7e222b, v52
	v_mul_f32_e32 v15, 0x3f116cb1, v15
	v_fmamk_f32 v28, v52, 0xbe750f2a, v62
	v_sub_f32_e32 v50, v50, v51
	v_mul_f32_e32 v51, 0xbf3f9e67, v27
	v_fmac_f32_e32 v59, 0x3eedf032, v52
	v_add_f32_e32 v53, v53, v56
	v_fmac_f32_e32 v62, 0x3e750f2a, v52
	v_add_f32_e32 v28, v28, v55
	v_fmamk_f32 v55, v52, 0xbf52af12, v15
	v_fmac_f32_e32 v15, 0x3f52af12, v52
	v_fmamk_f32 v52, v50, 0x3f29c268, v51
	v_mul_f32_e32 v56, 0x3df6dbef, v27
	v_add_f32_e32 v65, v67, v65
	v_fmac_f32_e32 v51, 0xbf29c268, v50
	v_add_f32_e32 v8, v15, v8
	v_add_f32_e32 v15, v52, v44
	v_fmamk_f32 v44, v50, 0xbf7e222b, v56
	v_mul_f32_e32 v52, 0x3f116cb1, v27
	v_add_f32_e32 v59, v59, v65
	v_add_f32_e32 v45, v51, v45
	v_mul_f32_e32 v51, 0xbf788fa5, v27
	v_add_f32_e32 v44, v44, v57
	v_fmamk_f32 v57, v50, 0x3f52af12, v52
	v_fmac_f32_e32 v52, 0xbf52af12, v50
	v_add_f32_e32 v16, v16, v24
	v_add_f32_e32 v55, v55, v58
	v_fmamk_f32 v58, v50, 0xbe750f2a, v51
	v_fmac_f32_e32 v51, 0x3e750f2a, v50
	v_add_f32_e32 v52, v52, v59
	v_mul_f32_e32 v59, 0x3f62ad3f, v27
	v_mul_f32_e32 v24, 0xbeb58ec6, v27
	v_sub_f32_e32 v46, v46, v48
	v_mul_f32_e32 v48, 0xbf788fa5, v16
	v_fmac_f32_e32 v56, 0x3f7e222b, v50
	v_add_f32_e32 v51, v51, v53
	v_fmamk_f32 v27, v50, 0xbeedf032, v59
	v_fmac_f32_e32 v59, 0x3eedf032, v50
	v_fmamk_f32 v53, v50, 0x3f6f5d39, v24
	v_fmac_f32_e32 v24, 0xbf6f5d39, v50
	v_fmamk_f32 v50, v46, 0x3e750f2a, v48
	v_add_f32_e32 v54, v62, v54
	v_add_f32_e32 v68, v68, v75
	v_fmac_f32_e32 v48, 0xbe750f2a, v46
	v_add_f32_e32 v8, v24, v8
	v_mul_f32_e32 v24, 0x3f62ad3f, v16
	v_add_f32_e32 v15, v50, v15
	v_mul_f32_e32 v50, 0xbf3f9e67, v16
	v_add_f32_e32 v56, v56, v61
	v_add_f32_e32 v57, v57, v60
	;; [unrolled: 1-line block ×5, first 2 shown]
	v_fmamk_f32 v54, v46, 0xbeedf032, v24
	v_fmac_f32_e32 v24, 0x3eedf032, v46
	v_fmamk_f32 v55, v46, 0x3f29c268, v50
	v_add_f32_e32 v67, v69, v68
	v_add_f32_e32 v45, v48, v45
	v_mul_f32_e32 v48, 0x3f116cb1, v16
	v_add_f32_e32 v44, v54, v44
	v_add_f32_e32 v24, v24, v56
	;; [unrolled: 1-line block ×3, first 2 shown]
	v_mov_b32_e32 v55, 0x270
	v_mov_b32_e32 v56, 2
	v_add_f32_e32 v63, v63, v67
	v_fmamk_f32 v59, v46, 0xbf52af12, v48
	v_fmac_f32_e32 v48, 0x3f52af12, v46
	v_mul_f32_e32 v57, 0xbeb58ec6, v16
	v_mul_f32_e32 v16, 0x3df6dbef, v16
	v_mul_u32_u24_sdwa v47, v47, v55 dst_sel:DWORD dst_unused:UNUSED_PAD src0_sel:WORD_0 src1_sel:DWORD
	v_lshlrev_b32_sdwa v49, v56, v49 dst_sel:DWORD dst_unused:UNUSED_PAD src0_sel:DWORD src1_sel:BYTE_0
	v_add_f32_e32 v58, v58, v63
	v_fmac_f32_e32 v50, 0xbf29c268, v46
	v_add_f32_e32 v48, v48, v51
	v_fmamk_f32 v51, v46, 0x3f6f5d39, v57
	v_fmamk_f32 v55, v46, 0xbf7e222b, v16
	v_fmac_f32_e32 v16, 0x3f7e222b, v46
	v_fmac_f32_e32 v57, 0xbf6f5d39, v46
	v_add3_u32 v46, 0, v47, v49
	v_add_f32_e32 v50, v50, v52
	v_add_f32_e32 v52, v59, v58
	;; [unrolled: 1-line block ×6, first 2 shown]
	ds_write2_b32 v46, v4, v15 offset1:12
	ds_write2_b32 v46, v44, v54 offset0:24 offset1:36
	ds_write2_b32 v46, v52, v27 offset0:48 offset1:60
	;; [unrolled: 1-line block ×5, first 2 shown]
	ds_write_b32 v46, v45 offset:576
.LBB0_21:
	s_or_b32 exec_lo, exec_lo, s1
	v_subrev_nc_u32_e32 v8, 39, v34
	v_cmp_gt_u32_e64 s0, 39, v34
	v_mov_b32_e32 v4, 0
	v_lshrrev_b16 v24, 2, v42
	v_mov_b32_e32 v47, 0xd21
	v_lshrrev_b16 v48, 2, v41
	v_cndmask_b32_e64 v8, v8, v43, s0
	v_lshlrev_b64 v[15:16], 3, v[3:4]
	s_waitcnt lgkmcnt(0)
	v_mul_u32_u24_sdwa v24, v24, v47 dst_sel:DWORD dst_unused:UNUSED_PAD src0_sel:WORD_0 src1_sel:DWORD
	v_mul_u32_u24_sdwa v51, v48, v47 dst_sel:DWORD dst_unused:UNUSED_PAD src0_sel:WORD_0 src1_sel:DWORD
	v_lshlrev_b32_e32 v3, 1, v8
	s_barrier
	v_add_co_u32 v15, s0, s8, v15
	v_add_co_ci_u32_e64 v16, s0, s9, v16, s0
	v_lshlrev_b64 v[27:28], 3, v[3:4]
	v_lshrrev_b32_e32 v24, 17, v24
	buffer_gl0_inv
	global_load_dwordx4 v[43:46], v[15:16], off offset:1232
	v_mov_b32_e32 v63, 2
	v_lshlrev_b32_e32 v8, 2, v8
	v_add_co_u32 v27, s0, s8, v27
	v_add_co_ci_u32_e64 v28, s0, s9, v28, s0
	v_mul_lo_u16 v3, 0x9c, v24
	v_cmp_lt_u32_e64 s0, 38, v34
	v_mul_u32_u24_e32 v24, 0x750, v24
	global_load_dwordx4 v[47:50], v[27:28], off offset:1232
	v_lshrrev_b32_e32 v27, 17, v51
	v_sub_nc_u16 v3, v42, v3
	v_mov_b32_e32 v42, 4
	v_cndmask_b32_e64 v64, 0, 0x750, s0
	v_mul_lo_u16 v27, 0x9c, v27
	v_lshlrev_b32_sdwa v28, v42, v3 dst_sel:DWORD dst_unused:UNUSED_PAD src0_sel:DWORD src1_sel:WORD_0
	v_lshlrev_b32_sdwa v3, v63, v3 dst_sel:DWORD dst_unused:UNUSED_PAD src0_sel:DWORD src1_sel:WORD_0
	v_add3_u32 v8, 0, v64, v8
	v_sub_nc_u16 v27, v41, v27
	global_load_dwordx4 v[51:54], v28, s[8:9] offset:1232
	v_add3_u32 v3, 0, v24, v3
	v_and_b32_e32 v61, 0xffff, v27
	v_lshlrev_b32_e32 v27, 4, v61
	v_lshl_add_u32 v61, v61, 2, 0
	global_load_dwordx4 v[55:58], v27, s[8:9] offset:1232
	ds_read_b32 v62, v17
	ds_read2_b32 v[27:28], v21 offset0:51 offset1:168
	ds_read2_b32 v[41:42], v22 offset0:73 offset1:190
	;; [unrolled: 1-line block ×3, first 2 shown]
	ds_read_b32 v63, v18
	ds_read_b32 v65, v19
	;; [unrolled: 1-line block ×4, first 2 shown]
	ds_read_b32 v68, v40 offset:5148
	s_waitcnt vmcnt(0) lgkmcnt(0)
	s_barrier
	buffer_gl0_inv
	v_add_nc_u32_e32 v69, 0xe00, v61
	v_mul_f32_e32 v24, v62, v44
	v_mul_f32_e32 v44, v31, v44
	;; [unrolled: 1-line block ×4, first 2 shown]
	v_fmac_f32_e32 v24, v31, v43
	v_fma_f32 v31, v62, v43, -v44
	v_fmac_f32_e32 v64, v10, v45
	v_fma_f32 v10, v28, v45, -v46
	v_mul_f32_e32 v28, v41, v48
	v_mul_f32_e32 v43, v13, v48
	v_add_f32_e32 v48, v24, v64
	v_add_f32_e32 v62, v67, v31
	v_mul_f32_e32 v44, v59, v50
	v_mul_f32_e32 v45, v11, v50
	v_sub_f32_e32 v50, v31, v10
	v_add_f32_e32 v31, v31, v10
	v_add_f32_e32 v46, v29, v24
	v_fmac_f32_e32 v28, v13, v47
	v_fma_f32 v13, v41, v47, -v43
	v_fmac_f32_e32 v29, -0.5, v48
	v_add_f32_e32 v43, v62, v10
	v_mul_f32_e32 v70, v42, v52
	v_mul_f32_e32 v52, v14, v52
	;; [unrolled: 1-line block ×4, first 2 shown]
	v_fmac_f32_e32 v44, v11, v49
	v_fmac_f32_e32 v70, v14, v51
	v_fma_f32 v10, v42, v51, -v52
	v_fma_f32 v11, v59, v49, -v45
	v_fmac_f32_e32 v67, -0.5, v31
	v_fmac_f32_e32 v71, v12, v53
	v_sub_f32_e32 v24, v24, v64
	v_add_f32_e32 v41, v46, v64
	v_fma_f32 v12, v60, v53, -v54
	v_mul_f32_e32 v14, v27, v56
	v_mul_f32_e32 v42, v68, v58
	;; [unrolled: 1-line block ×4, first 2 shown]
	v_fmamk_f32 v46, v50, 0xbf5db3d7, v29
	v_fmac_f32_e32 v14, v9, v55
	v_fmac_f32_e32 v42, v30, v57
	v_add_f32_e32 v51, v65, v10
	v_fmac_f32_e32 v29, 0x3f5db3d7, v50
	v_add_f32_e32 v48, v28, v44
	v_sub_f32_e32 v49, v13, v11
	v_add_f32_e32 v50, v63, v13
	v_add_f32_e32 v13, v13, v11
	v_fma_f32 v9, v27, v55, -v31
	v_add_f32_e32 v31, v70, v71
	v_fmamk_f32 v47, v24, 0x3f5db3d7, v67
	v_fmac_f32_e32 v67, 0xbf5db3d7, v24
	v_add_f32_e32 v24, v26, v28
	v_fma_f32 v27, v68, v57, -v45
	v_add_f32_e32 v30, v25, v70
	v_sub_f32_e32 v45, v10, v12
	v_add_f32_e32 v10, v10, v12
	ds_write2_b32 v40, v41, v46 offset1:156
	ds_write_b32 v40, v29 offset:1248
	v_add_f32_e32 v29, v51, v12
	v_add_f32_e32 v12, v14, v42
	v_fmac_f32_e32 v26, -0.5, v48
	v_sub_f32_e32 v28, v28, v44
	v_fmac_f32_e32 v63, -0.5, v13
	v_fmac_f32_e32 v25, -0.5, v31
	v_add_f32_e32 v24, v24, v44
	v_add_f32_e32 v44, v50, v11
	;; [unrolled: 1-line block ×3, first 2 shown]
	v_fmac_f32_e32 v65, -0.5, v10
	v_add_f32_e32 v10, v6, v14
	v_sub_f32_e32 v13, v9, v27
	v_add_f32_e32 v30, v66, v9
	v_add_f32_e32 v9, v9, v27
	v_fmac_f32_e32 v6, -0.5, v12
	v_sub_f32_e32 v31, v14, v42
	v_fmamk_f32 v14, v49, 0xbf5db3d7, v26
	v_fmac_f32_e32 v26, 0x3f5db3d7, v49
	v_fmamk_f32 v41, v28, 0x3f5db3d7, v63
	v_fmac_f32_e32 v63, 0xbf5db3d7, v28
	;; [unrolled: 2-line block ×3, first 2 shown]
	v_add_f32_e32 v10, v10, v42
	v_fmac_f32_e32 v66, -0.5, v9
	v_fmamk_f32 v9, v13, 0xbf5db3d7, v6
	v_fmac_f32_e32 v6, 0x3f5db3d7, v13
	ds_write2_b32 v8, v24, v14 offset1:156
	ds_write_b32 v8, v26 offset:1248
	ds_write2_b32 v3, v11, v28 offset1:156
	ds_write_b32 v3, v25 offset:1248
	ds_write2_b32 v69, v10, v9 offset0:40 offset1:196
	ds_write_b32 v61, v6 offset:4992
	s_waitcnt lgkmcnt(0)
	s_barrier
	buffer_gl0_inv
	ds_read_b32 v24, v40
	ds_read2_b32 v[9:10], v21 offset0:51 offset1:168
	ds_read2_b32 v[11:12], v22 offset0:73 offset1:190
	;; [unrolled: 1-line block ×3, first 2 shown]
	ds_read_b32 v21, v18
	ds_read_b32 v22, v19
	;; [unrolled: 1-line block ×4, first 2 shown]
	ds_read_b32 v26, v40 offset:5148
	v_sub_f32_e32 v52, v70, v71
	v_add_f32_e32 v27, v30, v27
	v_fmamk_f32 v28, v31, 0x3f5db3d7, v66
	v_fmac_f32_e32 v66, 0xbf5db3d7, v31
	s_waitcnt lgkmcnt(0)
	v_fmamk_f32 v6, v52, 0x3f5db3d7, v65
	v_fmac_f32_e32 v65, 0xbf5db3d7, v52
	s_barrier
	buffer_gl0_inv
	ds_write2_b32 v40, v43, v47 offset1:156
	ds_write_b32 v40, v67 offset:1248
	ds_write2_b32 v8, v44, v41 offset1:156
	ds_write_b32 v8, v63 offset:1248
	;; [unrolled: 2-line block ×3, first 2 shown]
	ds_write2_b32 v69, v27, v28 offset0:40 offset1:196
	ds_write_b32 v61, v66 offset:4992
	s_waitcnt lgkmcnt(0)
	s_barrier
	buffer_gl0_inv
	s_and_saveexec_b32 s0, vcc_lo
	s_cbranch_execz .LBB0_23
; %bb.22:
	v_mov_b32_e32 v8, v4
	v_mov_b32_e32 v6, v4
	;; [unrolled: 1-line block ×3, first 2 shown]
	v_add_nc_u32_e32 v55, 0x1000, v40
	v_lshrrev_b32_e32 v57, 2, v33
	v_lshlrev_b64 v[7:8], 3, v[7:8]
	v_lshlrev_b64 v[4:5], 3, v[5:6]
	;; [unrolled: 1-line block ×3, first 2 shown]
	v_mad_u64_u32 v[49:50], null, s2, v38, 0
	v_mul_hi_u32 v60, 0x46046047, v57
	v_add_co_u32 v6, vcc_lo, s8, v7
	v_add_co_ci_u32_e32 v7, vcc_lo, s9, v8, vcc_lo
	v_add_co_u32 v8, vcc_lo, s8, v4
	v_add_co_ci_u32_e32 v27, vcc_lo, s9, v5, vcc_lo
	;; [unrolled: 2-line block ×5, first 2 shown]
	s_clause 0x1
	global_load_dwordx4 v[2:5], v[4:5], off offset:1680
	global_load_dwordx4 v[27:30], v[6:7], off offset:1680
	v_add_co_u32 v6, vcc_lo, 0x800, v8
	v_add_co_ci_u32_e32 v7, vcc_lo, 0, v31, vcc_lo
	v_add_co_u32 v15, vcc_lo, 0x800, v15
	v_add_co_ci_u32_e32 v16, vcc_lo, 0, v16, vcc_lo
	s_clause 0x1
	global_load_dwordx4 v[41:44], v[6:7], off offset:1680
	global_load_dwordx4 v[45:48], v[15:16], off offset:1680
	v_mad_u64_u32 v[15:16], null, s2, v39, 0
	v_add_nc_u32_e32 v8, 0xc00, v40
	v_add_nc_u32_e32 v31, 0x800, v40
	ds_read_b32 v66, v20
	ds_read_b32 v67, v19
	;; [unrolled: 1-line block ×4, first 2 shown]
	ds_read_b32 v70, v40 offset:5148
	ds_read_b32 v71, v40
	v_lshrrev_b32_e32 v40, 2, v32
	v_mad_u64_u32 v[17:18], null, s2, v35, 0
	v_add_co_u32 v72, vcc_lo, s12, v0
	v_mad_u64_u32 v[19:20], null, s2, v36, 0
	v_mad_u64_u32 v[6:7], null, s2, v34, 0
	v_add_co_ci_u32_e32 v73, vcc_lo, s13, v1, vcc_lo
	v_mad_u64_u32 v[0:1], null, s2, v37, 0
	ds_read2_b32 v[51:52], v8 offset0:51 offset1:168
	ds_read2_b32 v[53:54], v31 offset0:73 offset1:190
	;; [unrolled: 1-line block ×3, first 2 shown]
	v_mul_hi_u32 v31, 0x46046047, v40
	v_mov_b32_e32 v8, v16
	v_mov_b32_e32 v16, v18
	;; [unrolled: 1-line block ×4, first 2 shown]
	v_mad_u64_u32 v[57:58], null, s3, v34, v[7:8]
	v_mad_u64_u32 v[34:35], null, s3, v35, v[16:17]
	v_lshrrev_b32_e32 v7, 5, v60
	v_mad_u64_u32 v[35:36], null, s3, v36, v[18:19]
	v_mad_u64_u32 v[39:40], null, s3, v39, v[8:9]
	v_mad_u32_u24 v61, 0x3a8, v7, v33
	v_mov_b32_e32 v18, v34
	v_mov_b32_e32 v7, v57
	v_mad_u64_u32 v[33:34], null, s2, v61, 0
	v_add_nc_u32_e32 v64, 0x1d4, v61
	v_add_nc_u32_e32 v65, 0x3a8, v61
	v_mov_b32_e32 v16, v39
	v_lshlrev_b64 v[6:7], 3, v[6:7]
	v_lshlrev_b64 v[17:18], 3, v[17:18]
	v_lshlrev_b64 v[15:16], 3, v[15:16]
	v_add_co_u32 v6, vcc_lo, v72, v6
	v_add_co_ci_u32_e32 v7, vcc_lo, v73, v7, vcc_lo
	s_waitcnt vmcnt(3)
	v_mad_u64_u32 v[58:59], null, s3, v37, v[1:2]
	v_lshrrev_b32_e32 v1, 5, v31
	v_mad_u64_u32 v[36:37], null, s3, v38, v[20:21]
	v_mov_b32_e32 v20, v35
	v_mad_u32_u24 v59, 0x3a8, v1, v32
	v_mov_b32_e32 v1, v58
	v_mad_u64_u32 v[57:58], null, s2, v65, 0
	v_mov_b32_e32 v50, v36
	v_mad_u64_u32 v[31:32], null, s2, v59, 0
	v_add_nc_u32_e32 v62, 0x1d4, v59
	v_add_nc_u32_e32 v63, 0x3a8, v59
	v_lshlrev_b64 v[35:36], 3, v[49:50]
	v_mad_u64_u32 v[49:50], null, s2, v64, 0
	v_mad_u64_u32 v[37:38], null, s2, v62, 0
	;; [unrolled: 1-line block ×3, first 2 shown]
	v_mov_b32_e32 v8, v32
	v_mov_b32_e32 v32, v34
	v_lshlrev_b64 v[0:1], 3, v[0:1]
	v_lshlrev_b64 v[19:20], 3, v[19:20]
	v_mad_u64_u32 v[59:60], null, s3, v59, v[8:9]
	v_mov_b32_e32 v8, v38
	v_mov_b32_e32 v34, v40
	v_mad_u64_u32 v[60:61], null, s3, v61, v[32:33]
	v_mov_b32_e32 v32, v50
	v_mov_b32_e32 v38, v58
	v_mad_u64_u32 v[61:62], null, s3, v62, v[8:9]
	v_mad_u64_u32 v[62:63], null, s3, v63, v[34:35]
	;; [unrolled: 1-line block ×3, first 2 shown]
	v_add_co_u32 v0, vcc_lo, v72, v0
	v_mad_u64_u32 v[64:65], null, s3, v65, v[38:39]
	v_add_co_ci_u32_e32 v1, vcc_lo, v73, v1, vcc_lo
	v_add_co_u32 v15, vcc_lo, v72, v15
	v_mov_b32_e32 v32, v59
	v_add_co_ci_u32_e32 v16, vcc_lo, v73, v16, vcc_lo
	v_add_co_u32 v17, vcc_lo, v72, v17
	v_mov_b32_e32 v34, v60
	v_add_co_ci_u32_e32 v18, vcc_lo, v73, v18, vcc_lo
	v_mov_b32_e32 v38, v61
	v_mov_b32_e32 v58, v64
	v_mul_f32_e32 v8, v9, v2
	v_mul_f32_e32 v59, v26, v4
	v_mul_f32_e32 v9, v9, v3
	v_mul_f32_e32 v26, v26, v5
	s_waitcnt vmcnt(2)
	v_mul_f32_e32 v60, v12, v28
	v_mul_f32_e32 v61, v14, v30
	s_waitcnt lgkmcnt(1)
	v_mul_f32_e32 v28, v54, v28
	s_waitcnt lgkmcnt(0)
	v_mul_f32_e32 v30, v56, v30
	s_waitcnt vmcnt(0)
	v_mul_f32_e32 v64, v25, v46
	v_mul_f32_e32 v65, v10, v48
	;; [unrolled: 1-line block ×4, first 2 shown]
	v_add_co_u32 v19, vcc_lo, v72, v19
	v_lshlrev_b64 v[31:32], 3, v[31:32]
	v_add_co_ci_u32_e32 v20, vcc_lo, v73, v20, vcc_lo
	v_mov_b32_e32 v40, v62
	v_mov_b32_e32 v50, v63
	v_mul_f32_e32 v62, v11, v42
	v_mul_f32_e32 v63, v13, v44
	;; [unrolled: 1-line block ×4, first 2 shown]
	v_add_co_u32 v35, vcc_lo, v72, v35
	v_lshlrev_b64 v[33:34], 3, v[33:34]
	v_fmac_f32_e32 v8, v51, v3
	v_fmac_f32_e32 v59, v70, v5
	v_fma_f32 v2, v51, v2, -v9
	v_fma_f32 v4, v70, v4, -v26
	;; [unrolled: 1-line block ×4, first 2 shown]
	v_fmac_f32_e32 v28, v12, v27
	v_fmac_f32_e32 v30, v14, v29
	v_fma_f32 v9, v69, v45, -v64
	v_fma_f32 v27, v52, v47, -v65
	v_fmac_f32_e32 v46, v25, v45
	v_fmac_f32_e32 v48, v10, v47
	v_add_co_ci_u32_e32 v36, vcc_lo, v73, v36, vcc_lo
	v_lshlrev_b64 v[37:38], 3, v[37:38]
	v_add_co_u32 v31, vcc_lo, v72, v31
	v_fma_f32 v5, v53, v41, -v62
	v_fma_f32 v14, v55, v43, -v63
	v_fmac_f32_e32 v42, v11, v41
	v_fmac_f32_e32 v44, v13, v43
	v_add_co_ci_u32_e32 v32, vcc_lo, v73, v32, vcc_lo
	v_lshlrev_b64 v[39:40], 3, v[39:40]
	v_add_co_u32 v33, vcc_lo, v72, v33
	v_sub_f32_e32 v41, v8, v59
	v_add_f32_e32 v11, v8, v59
	v_add_f32_e32 v12, v2, v66
	;; [unrolled: 1-line block ×7, first 2 shown]
	v_add_co_ci_u32_e32 v34, vcc_lo, v73, v34, vcc_lo
	v_lshlrev_b64 v[49:50], 3, v[49:50]
	v_add_co_u32 v37, vcc_lo, v72, v37
	v_add_f32_e32 v51, v5, v14
	v_add_f32_e32 v53, v42, v44
	;; [unrolled: 1-line block ×4, first 2 shown]
	v_sub_f32_e32 v60, v46, v48
	v_add_f32_e32 v63, v71, v9
	v_add_f32_e32 v46, v24, v46
	v_add_co_ci_u32_e32 v38, vcc_lo, v73, v38, vcc_lo
	v_sub_f32_e32 v43, v2, v4
	v_sub_f32_e32 v45, v28, v30
	;; [unrolled: 1-line block ×4, first 2 shown]
	v_add_f32_e32 v55, v68, v5
	v_add_f32_e32 v42, v21, v42
	v_sub_f32_e32 v62, v9, v27
	v_add_f32_e32 v5, v4, v12
	v_add_f32_e32 v4, v8, v59
	v_fma_f32 v9, -0.5, v13, v67
	v_fma_f32 v8, -0.5, v25, v22
	;; [unrolled: 1-line block ×4, first 2 shown]
	v_lshlrev_b64 v[57:58], 3, v[57:58]
	v_add_co_u32 v39, vcc_lo, v72, v39
	v_add_co_ci_u32_e32 v40, vcc_lo, v73, v40, vcc_lo
	v_add_f32_e32 v28, v22, v28
	v_fma_f32 v2, -0.5, v11, v23
	v_fma_f32 v13, -0.5, v51, v68
	;; [unrolled: 1-line block ×3, first 2 shown]
	v_add_co_u32 v49, vcc_lo, v72, v49
	v_sub_f32_e32 v47, v3, v26
	v_fma_f32 v3, -0.5, v10, v66
	v_add_f32_e32 v11, v29, v26
	v_add_f32_e32 v27, v63, v27
	;; [unrolled: 1-line block ×4, first 2 shown]
	v_fmamk_f32 v42, v45, 0xbf5db3d7, v9
	v_fmac_f32_e32 v9, 0x3f5db3d7, v45
	v_fmamk_f32 v46, v60, 0xbf5db3d7, v25
	v_fmamk_f32 v45, v62, 0x3f5db3d7, v24
	v_fmac_f32_e32 v25, 0x3f5db3d7, v60
	v_fmac_f32_e32 v24, 0xbf5db3d7, v62
	v_add_co_ci_u32_e32 v50, vcc_lo, v73, v50, vcc_lo
	v_add_co_u32 v57, vcc_lo, v72, v57
	v_add_f32_e32 v22, v55, v14
	v_add_f32_e32 v10, v28, v30
	v_fmamk_f32 v28, v43, 0xbf5db3d7, v2
	v_fmac_f32_e32 v2, 0x3f5db3d7, v43
	v_fmamk_f32 v44, v52, 0xbf5db3d7, v13
	v_fmamk_f32 v43, v54, 0x3f5db3d7, v12
	v_fmac_f32_e32 v13, 0x3f5db3d7, v52
	v_fmac_f32_e32 v12, 0xbf5db3d7, v54
	v_add_co_ci_u32_e32 v58, vcc_lo, v73, v58, vcc_lo
	v_fmamk_f32 v29, v41, 0x3f5db3d7, v3
	v_fmac_f32_e32 v3, 0xbf5db3d7, v41
	v_fmamk_f32 v41, v47, 0x3f5db3d7, v8
	v_fmac_f32_e32 v8, 0xbf5db3d7, v47
	global_store_dwordx2 v[6:7], v[26:27], off
	global_store_dwordx2 v[0:1], v[24:25], off
	;; [unrolled: 1-line block ×12, first 2 shown]
.LBB0_23:
	s_endpgm
	.section	.rodata,"a",@progbits
	.p2align	6, 0x0
	.amdhsa_kernel fft_rtc_back_len1404_factors_2_2_3_13_3_3_wgs_117_tpt_117_halfLds_sp_ip_CI_sbrr_dirReg
		.amdhsa_group_segment_fixed_size 0
		.amdhsa_private_segment_fixed_size 0
		.amdhsa_kernarg_size 88
		.amdhsa_user_sgpr_count 6
		.amdhsa_user_sgpr_private_segment_buffer 1
		.amdhsa_user_sgpr_dispatch_ptr 0
		.amdhsa_user_sgpr_queue_ptr 0
		.amdhsa_user_sgpr_kernarg_segment_ptr 1
		.amdhsa_user_sgpr_dispatch_id 0
		.amdhsa_user_sgpr_flat_scratch_init 0
		.amdhsa_user_sgpr_private_segment_size 0
		.amdhsa_wavefront_size32 1
		.amdhsa_uses_dynamic_stack 0
		.amdhsa_system_sgpr_private_segment_wavefront_offset 0
		.amdhsa_system_sgpr_workgroup_id_x 1
		.amdhsa_system_sgpr_workgroup_id_y 0
		.amdhsa_system_sgpr_workgroup_id_z 0
		.amdhsa_system_sgpr_workgroup_info 0
		.amdhsa_system_vgpr_workitem_id 0
		.amdhsa_next_free_vgpr 92
		.amdhsa_next_free_sgpr 23
		.amdhsa_reserve_vcc 1
		.amdhsa_reserve_flat_scratch 0
		.amdhsa_float_round_mode_32 0
		.amdhsa_float_round_mode_16_64 0
		.amdhsa_float_denorm_mode_32 3
		.amdhsa_float_denorm_mode_16_64 3
		.amdhsa_dx10_clamp 1
		.amdhsa_ieee_mode 1
		.amdhsa_fp16_overflow 0
		.amdhsa_workgroup_processor_mode 1
		.amdhsa_memory_ordered 1
		.amdhsa_forward_progress 0
		.amdhsa_shared_vgpr_count 0
		.amdhsa_exception_fp_ieee_invalid_op 0
		.amdhsa_exception_fp_denorm_src 0
		.amdhsa_exception_fp_ieee_div_zero 0
		.amdhsa_exception_fp_ieee_overflow 0
		.amdhsa_exception_fp_ieee_underflow 0
		.amdhsa_exception_fp_ieee_inexact 0
		.amdhsa_exception_int_div_zero 0
	.end_amdhsa_kernel
	.text
.Lfunc_end0:
	.size	fft_rtc_back_len1404_factors_2_2_3_13_3_3_wgs_117_tpt_117_halfLds_sp_ip_CI_sbrr_dirReg, .Lfunc_end0-fft_rtc_back_len1404_factors_2_2_3_13_3_3_wgs_117_tpt_117_halfLds_sp_ip_CI_sbrr_dirReg
                                        ; -- End function
	.section	.AMDGPU.csdata,"",@progbits
; Kernel info:
; codeLenInByte = 10424
; NumSgprs: 25
; NumVgprs: 92
; ScratchSize: 0
; MemoryBound: 0
; FloatMode: 240
; IeeeMode: 1
; LDSByteSize: 0 bytes/workgroup (compile time only)
; SGPRBlocks: 3
; VGPRBlocks: 11
; NumSGPRsForWavesPerEU: 25
; NumVGPRsForWavesPerEU: 92
; Occupancy: 10
; WaveLimiterHint : 1
; COMPUTE_PGM_RSRC2:SCRATCH_EN: 0
; COMPUTE_PGM_RSRC2:USER_SGPR: 6
; COMPUTE_PGM_RSRC2:TRAP_HANDLER: 0
; COMPUTE_PGM_RSRC2:TGID_X_EN: 1
; COMPUTE_PGM_RSRC2:TGID_Y_EN: 0
; COMPUTE_PGM_RSRC2:TGID_Z_EN: 0
; COMPUTE_PGM_RSRC2:TIDIG_COMP_CNT: 0
	.text
	.p2alignl 6, 3214868480
	.fill 48, 4, 3214868480
	.type	__hip_cuid_accd9ff8bdcbf192,@object ; @__hip_cuid_accd9ff8bdcbf192
	.section	.bss,"aw",@nobits
	.globl	__hip_cuid_accd9ff8bdcbf192
__hip_cuid_accd9ff8bdcbf192:
	.byte	0                               ; 0x0
	.size	__hip_cuid_accd9ff8bdcbf192, 1

	.ident	"AMD clang version 19.0.0git (https://github.com/RadeonOpenCompute/llvm-project roc-6.4.0 25133 c7fe45cf4b819c5991fe208aaa96edf142730f1d)"
	.section	".note.GNU-stack","",@progbits
	.addrsig
	.addrsig_sym __hip_cuid_accd9ff8bdcbf192
	.amdgpu_metadata
---
amdhsa.kernels:
  - .args:
      - .actual_access:  read_only
        .address_space:  global
        .offset:         0
        .size:           8
        .value_kind:     global_buffer
      - .offset:         8
        .size:           8
        .value_kind:     by_value
      - .actual_access:  read_only
        .address_space:  global
        .offset:         16
        .size:           8
        .value_kind:     global_buffer
      - .actual_access:  read_only
        .address_space:  global
        .offset:         24
        .size:           8
        .value_kind:     global_buffer
      - .offset:         32
        .size:           8
        .value_kind:     by_value
      - .actual_access:  read_only
        .address_space:  global
        .offset:         40
        .size:           8
        .value_kind:     global_buffer
      - .actual_access:  read_only
        .address_space:  global
        .offset:         48
        .size:           8
        .value_kind:     global_buffer
      - .offset:         56
        .size:           4
        .value_kind:     by_value
      - .actual_access:  read_only
        .address_space:  global
        .offset:         64
        .size:           8
        .value_kind:     global_buffer
      - .actual_access:  read_only
        .address_space:  global
        .offset:         72
        .size:           8
        .value_kind:     global_buffer
      - .address_space:  global
        .offset:         80
        .size:           8
        .value_kind:     global_buffer
    .group_segment_fixed_size: 0
    .kernarg_segment_align: 8
    .kernarg_segment_size: 88
    .language:       OpenCL C
    .language_version:
      - 2
      - 0
    .max_flat_workgroup_size: 117
    .name:           fft_rtc_back_len1404_factors_2_2_3_13_3_3_wgs_117_tpt_117_halfLds_sp_ip_CI_sbrr_dirReg
    .private_segment_fixed_size: 0
    .sgpr_count:     25
    .sgpr_spill_count: 0
    .symbol:         fft_rtc_back_len1404_factors_2_2_3_13_3_3_wgs_117_tpt_117_halfLds_sp_ip_CI_sbrr_dirReg.kd
    .uniform_work_group_size: 1
    .uses_dynamic_stack: false
    .vgpr_count:     92
    .vgpr_spill_count: 0
    .wavefront_size: 32
    .workgroup_processor_mode: 1
amdhsa.target:   amdgcn-amd-amdhsa--gfx1030
amdhsa.version:
  - 1
  - 2
...

	.end_amdgpu_metadata
